;; amdgpu-corpus repo=ROCm/rocFFT kind=compiled arch=gfx906 opt=O3
	.text
	.amdgcn_target "amdgcn-amd-amdhsa--gfx906"
	.amdhsa_code_object_version 6
	.protected	fft_rtc_back_len1470_factors_2_3_5_7_7_wgs_210_tpt_210_halfLds_sp_ip_CI_unitstride_sbrr_dirReg ; -- Begin function fft_rtc_back_len1470_factors_2_3_5_7_7_wgs_210_tpt_210_halfLds_sp_ip_CI_unitstride_sbrr_dirReg
	.globl	fft_rtc_back_len1470_factors_2_3_5_7_7_wgs_210_tpt_210_halfLds_sp_ip_CI_unitstride_sbrr_dirReg
	.p2align	8
	.type	fft_rtc_back_len1470_factors_2_3_5_7_7_wgs_210_tpt_210_halfLds_sp_ip_CI_unitstride_sbrr_dirReg,@function
fft_rtc_back_len1470_factors_2_3_5_7_7_wgs_210_tpt_210_halfLds_sp_ip_CI_unitstride_sbrr_dirReg: ; @fft_rtc_back_len1470_factors_2_3_5_7_7_wgs_210_tpt_210_halfLds_sp_ip_CI_unitstride_sbrr_dirReg
; %bb.0:
	s_load_dwordx2 s[12:13], s[4:5], 0x50
	s_load_dwordx4 s[8:11], s[4:5], 0x0
	s_load_dwordx2 s[2:3], s[4:5], 0x18
	v_mul_u32_u24_e32 v1, 0x139, v0
	v_add_u32_sdwa v5, s6, v1 dst_sel:DWORD dst_unused:UNUSED_PAD src0_sel:DWORD src1_sel:WORD_1
	v_mov_b32_e32 v3, 0
	s_waitcnt lgkmcnt(0)
	v_cmp_lt_u64_e64 s[0:1], s[10:11], 2
	v_mov_b32_e32 v1, 0
	v_mov_b32_e32 v6, v3
	s_and_b64 vcc, exec, s[0:1]
	v_mov_b32_e32 v2, 0
	s_cbranch_vccnz .LBB0_8
; %bb.1:
	s_load_dwordx2 s[0:1], s[4:5], 0x10
	s_add_u32 s6, s2, 8
	s_addc_u32 s7, s3, 0
	v_mov_b32_e32 v1, 0
	v_mov_b32_e32 v2, 0
	s_waitcnt lgkmcnt(0)
	s_add_u32 s14, s0, 8
	s_addc_u32 s15, s1, 0
	s_mov_b64 s[16:17], 1
.LBB0_2:                                ; =>This Inner Loop Header: Depth=1
	s_load_dwordx2 s[18:19], s[14:15], 0x0
                                        ; implicit-def: $vgpr7_vgpr8
	s_waitcnt lgkmcnt(0)
	v_or_b32_e32 v4, s19, v6
	v_cmp_ne_u64_e32 vcc, 0, v[3:4]
	s_and_saveexec_b64 s[0:1], vcc
	s_xor_b64 s[20:21], exec, s[0:1]
	s_cbranch_execz .LBB0_4
; %bb.3:                                ;   in Loop: Header=BB0_2 Depth=1
	v_cvt_f32_u32_e32 v4, s18
	v_cvt_f32_u32_e32 v7, s19
	s_sub_u32 s0, 0, s18
	s_subb_u32 s1, 0, s19
	v_mac_f32_e32 v4, 0x4f800000, v7
	v_rcp_f32_e32 v4, v4
	v_mul_f32_e32 v4, 0x5f7ffffc, v4
	v_mul_f32_e32 v7, 0x2f800000, v4
	v_trunc_f32_e32 v7, v7
	v_mac_f32_e32 v4, 0xcf800000, v7
	v_cvt_u32_f32_e32 v7, v7
	v_cvt_u32_f32_e32 v4, v4
	v_mul_lo_u32 v8, s0, v7
	v_mul_hi_u32 v9, s0, v4
	v_mul_lo_u32 v11, s1, v4
	v_mul_lo_u32 v10, s0, v4
	v_add_u32_e32 v8, v9, v8
	v_add_u32_e32 v8, v8, v11
	v_mul_hi_u32 v9, v4, v10
	v_mul_lo_u32 v11, v4, v8
	v_mul_hi_u32 v13, v4, v8
	v_mul_hi_u32 v12, v7, v10
	v_mul_lo_u32 v10, v7, v10
	v_mul_hi_u32 v14, v7, v8
	v_add_co_u32_e32 v9, vcc, v9, v11
	v_addc_co_u32_e32 v11, vcc, 0, v13, vcc
	v_mul_lo_u32 v8, v7, v8
	v_add_co_u32_e32 v9, vcc, v9, v10
	v_addc_co_u32_e32 v9, vcc, v11, v12, vcc
	v_addc_co_u32_e32 v10, vcc, 0, v14, vcc
	v_add_co_u32_e32 v8, vcc, v9, v8
	v_addc_co_u32_e32 v9, vcc, 0, v10, vcc
	v_add_co_u32_e32 v4, vcc, v4, v8
	v_addc_co_u32_e32 v7, vcc, v7, v9, vcc
	v_mul_lo_u32 v8, s0, v7
	v_mul_hi_u32 v9, s0, v4
	v_mul_lo_u32 v10, s1, v4
	v_mul_lo_u32 v11, s0, v4
	v_add_u32_e32 v8, v9, v8
	v_add_u32_e32 v8, v8, v10
	v_mul_lo_u32 v12, v4, v8
	v_mul_hi_u32 v13, v4, v11
	v_mul_hi_u32 v14, v4, v8
	;; [unrolled: 1-line block ×3, first 2 shown]
	v_mul_lo_u32 v11, v7, v11
	v_mul_hi_u32 v9, v7, v8
	v_add_co_u32_e32 v12, vcc, v13, v12
	v_addc_co_u32_e32 v13, vcc, 0, v14, vcc
	v_mul_lo_u32 v8, v7, v8
	v_add_co_u32_e32 v11, vcc, v12, v11
	v_addc_co_u32_e32 v10, vcc, v13, v10, vcc
	v_addc_co_u32_e32 v9, vcc, 0, v9, vcc
	v_add_co_u32_e32 v8, vcc, v10, v8
	v_addc_co_u32_e32 v9, vcc, 0, v9, vcc
	v_add_co_u32_e32 v4, vcc, v4, v8
	v_addc_co_u32_e32 v9, vcc, v7, v9, vcc
	v_mad_u64_u32 v[7:8], s[0:1], v5, v9, 0
	v_mul_hi_u32 v10, v5, v4
	v_add_co_u32_e32 v11, vcc, v10, v7
	v_addc_co_u32_e32 v12, vcc, 0, v8, vcc
	v_mad_u64_u32 v[7:8], s[0:1], v6, v4, 0
	v_mad_u64_u32 v[9:10], s[0:1], v6, v9, 0
	v_add_co_u32_e32 v4, vcc, v11, v7
	v_addc_co_u32_e32 v4, vcc, v12, v8, vcc
	v_addc_co_u32_e32 v7, vcc, 0, v10, vcc
	v_add_co_u32_e32 v4, vcc, v4, v9
	v_addc_co_u32_e32 v9, vcc, 0, v7, vcc
	v_mul_lo_u32 v10, s19, v4
	v_mul_lo_u32 v11, s18, v9
	v_mad_u64_u32 v[7:8], s[0:1], s18, v4, 0
	v_add3_u32 v8, v8, v11, v10
	v_sub_u32_e32 v10, v6, v8
	v_mov_b32_e32 v11, s19
	v_sub_co_u32_e32 v7, vcc, v5, v7
	v_subb_co_u32_e64 v10, s[0:1], v10, v11, vcc
	v_subrev_co_u32_e64 v11, s[0:1], s18, v7
	v_subbrev_co_u32_e64 v10, s[0:1], 0, v10, s[0:1]
	v_cmp_le_u32_e64 s[0:1], s19, v10
	v_cndmask_b32_e64 v12, 0, -1, s[0:1]
	v_cmp_le_u32_e64 s[0:1], s18, v11
	v_cndmask_b32_e64 v11, 0, -1, s[0:1]
	v_cmp_eq_u32_e64 s[0:1], s19, v10
	v_cndmask_b32_e64 v10, v12, v11, s[0:1]
	v_add_co_u32_e64 v11, s[0:1], 2, v4
	v_addc_co_u32_e64 v12, s[0:1], 0, v9, s[0:1]
	v_add_co_u32_e64 v13, s[0:1], 1, v4
	v_addc_co_u32_e64 v14, s[0:1], 0, v9, s[0:1]
	v_subb_co_u32_e32 v8, vcc, v6, v8, vcc
	v_cmp_ne_u32_e64 s[0:1], 0, v10
	v_cmp_le_u32_e32 vcc, s19, v8
	v_cndmask_b32_e64 v10, v14, v12, s[0:1]
	v_cndmask_b32_e64 v12, 0, -1, vcc
	v_cmp_le_u32_e32 vcc, s18, v7
	v_cndmask_b32_e64 v7, 0, -1, vcc
	v_cmp_eq_u32_e32 vcc, s19, v8
	v_cndmask_b32_e32 v7, v12, v7, vcc
	v_cmp_ne_u32_e32 vcc, 0, v7
	v_cndmask_b32_e64 v7, v13, v11, s[0:1]
	v_cndmask_b32_e32 v8, v9, v10, vcc
	v_cndmask_b32_e32 v7, v4, v7, vcc
.LBB0_4:                                ;   in Loop: Header=BB0_2 Depth=1
	s_andn2_saveexec_b64 s[0:1], s[20:21]
	s_cbranch_execz .LBB0_6
; %bb.5:                                ;   in Loop: Header=BB0_2 Depth=1
	v_cvt_f32_u32_e32 v4, s18
	s_sub_i32 s20, 0, s18
	v_rcp_iflag_f32_e32 v4, v4
	v_mul_f32_e32 v4, 0x4f7ffffe, v4
	v_cvt_u32_f32_e32 v4, v4
	v_mul_lo_u32 v7, s20, v4
	v_mul_hi_u32 v7, v4, v7
	v_add_u32_e32 v4, v4, v7
	v_mul_hi_u32 v4, v5, v4
	v_mul_lo_u32 v7, v4, s18
	v_add_u32_e32 v8, 1, v4
	v_sub_u32_e32 v7, v5, v7
	v_subrev_u32_e32 v9, s18, v7
	v_cmp_le_u32_e32 vcc, s18, v7
	v_cndmask_b32_e32 v7, v7, v9, vcc
	v_cndmask_b32_e32 v4, v4, v8, vcc
	v_add_u32_e32 v8, 1, v4
	v_cmp_le_u32_e32 vcc, s18, v7
	v_cndmask_b32_e32 v7, v4, v8, vcc
	v_mov_b32_e32 v8, v3
.LBB0_6:                                ;   in Loop: Header=BB0_2 Depth=1
	s_or_b64 exec, exec, s[0:1]
	v_mul_lo_u32 v4, v8, s18
	v_mul_lo_u32 v11, v7, s19
	v_mad_u64_u32 v[9:10], s[0:1], v7, s18, 0
	s_load_dwordx2 s[0:1], s[6:7], 0x0
	s_add_u32 s16, s16, 1
	v_add3_u32 v4, v10, v11, v4
	v_sub_co_u32_e32 v5, vcc, v5, v9
	v_subb_co_u32_e32 v4, vcc, v6, v4, vcc
	s_waitcnt lgkmcnt(0)
	v_mul_lo_u32 v4, s0, v4
	v_mul_lo_u32 v6, s1, v5
	v_mad_u64_u32 v[1:2], s[0:1], s0, v5, v[1:2]
	s_addc_u32 s17, s17, 0
	s_add_u32 s6, s6, 8
	v_add3_u32 v2, v6, v2, v4
	v_mov_b32_e32 v4, s10
	v_mov_b32_e32 v5, s11
	s_addc_u32 s7, s7, 0
	v_cmp_ge_u64_e32 vcc, s[16:17], v[4:5]
	s_add_u32 s14, s14, 8
	s_addc_u32 s15, s15, 0
	s_cbranch_vccnz .LBB0_9
; %bb.7:                                ;   in Loop: Header=BB0_2 Depth=1
	v_mov_b32_e32 v5, v7
	v_mov_b32_e32 v6, v8
	s_branch .LBB0_2
.LBB0_8:
	v_mov_b32_e32 v8, v6
	v_mov_b32_e32 v7, v5
.LBB0_9:
	s_lshl_b64 s[0:1], s[10:11], 3
	s_add_u32 s0, s2, s0
	s_addc_u32 s1, s3, s1
	s_load_dwordx2 s[2:3], s[0:1], 0x0
	s_load_dwordx2 s[6:7], s[4:5], 0x20
	v_mov_b32_e32 v5, 0
                                        ; implicit-def: $vgpr18
                                        ; implicit-def: $vgpr16
                                        ; implicit-def: $vgpr20
                                        ; implicit-def: $vgpr26
                                        ; implicit-def: $vgpr22
                                        ; implicit-def: $vgpr24
	s_waitcnt lgkmcnt(0)
	v_mad_u64_u32 v[9:10], s[0:1], s2, v7, v[1:2]
	s_mov_b32 s0, 0x1381382
	v_mul_lo_u32 v3, s2, v8
	v_mul_lo_u32 v4, s3, v7
	v_mul_hi_u32 v1, v0, s0
	v_cmp_gt_u64_e64 s[0:1], s[6:7], v[7:8]
	v_mov_b32_e32 v2, 0
	v_add3_u32 v10, v4, v10, v3
	v_mul_u32_u24_e32 v1, 0xd2, v1
	v_sub_u32_e32 v3, v0, v1
	v_lshlrev_b64 v[0:1], 3, v[9:10]
	v_mov_b32_e32 v4, 0
                                        ; implicit-def: $vgpr10
	s_and_saveexec_b64 s[2:3], s[0:1]
	s_cbranch_execz .LBB0_13
; %bb.10:
	v_mov_b32_e32 v4, 0
	v_mov_b32_e32 v2, s13
	v_add_co_u32_e32 v5, vcc, s12, v0
	v_lshlrev_b64 v[6:7], 3, v[3:4]
	v_addc_co_u32_e32 v2, vcc, v2, v1, vcc
	v_add_co_u32_e32 v6, vcc, v5, v6
	v_addc_co_u32_e32 v7, vcc, v2, v7, vcc
	v_add_co_u32_e32 v11, vcc, 0x1000, v6
	v_addc_co_u32_e32 v12, vcc, 0, v7, vcc
	global_load_dwordx2 v[9:10], v[6:7], off
	global_load_dwordx2 v[15:16], v[6:7], off offset:1680
	global_load_dwordx2 v[17:18], v[11:12], off offset:1784
	;; [unrolled: 1-line block ×3, first 2 shown]
	v_add_co_u32_e32 v13, vcc, 0x2000, v6
	v_addc_co_u32_e32 v14, vcc, 0, v7, vcc
	global_load_dwordx2 v[23:24], v[11:12], off offset:3464
	global_load_dwordx2 v[21:22], v[13:14], off offset:1048
	s_movk_i32 s4, 0x69
	v_cmp_gt_u32_e32 vcc, s4, v3
	v_mov_b32_e32 v5, v4
                                        ; implicit-def: $vgpr25
	s_and_saveexec_b64 s[4:5], vcc
	s_cbranch_execz .LBB0_12
; %bb.11:
	v_add_co_u32_e32 v11, vcc, 0x1000, v6
	v_addc_co_u32_e32 v12, vcc, 0, v7, vcc
	v_add_co_u32_e32 v6, vcc, 0x2000, v6
	v_addc_co_u32_e32 v7, vcc, 0, v7, vcc
	global_load_dwordx2 v[4:5], v[11:12], off offset:944
	global_load_dwordx2 v[25:26], v[6:7], off offset:2728
.LBB0_12:
	s_or_b64 exec, exec, s[4:5]
	v_mov_b32_e32 v2, v3
.LBB0_13:
	s_or_b64 exec, exec, s[2:3]
	s_waitcnt vmcnt(3)
	v_sub_f32_e32 v7, v9, v17
	v_fma_f32 v6, v9, 2.0, -v7
	v_lshl_add_u32 v17, v3, 3, 0
	ds_write_b64 v17, v[6:7]
	s_waitcnt vmcnt(1)
	v_sub_f32_e32 v7, v15, v23
	v_add_u32_e32 v23, 0xd2, v3
	v_fma_f32 v6, v15, 2.0, -v7
	v_lshl_add_u32 v28, v23, 3, 0
	s_waitcnt vmcnt(0)
	v_sub_f32_e32 v9, v4, v25
	ds_write_b64 v28, v[6:7]
	v_sub_f32_e32 v7, v19, v21
	v_add_u32_e32 v27, 0x1a4, v3
	v_fma_f32 v8, v4, 2.0, -v9
	s_movk_i32 s2, 0x69
	v_add_u32_e32 v4, 0x276, v3
	v_fma_f32 v6, v19, 2.0, -v7
	v_lshl_add_u32 v19, v27, 3, 0
	v_cmp_gt_u32_e32 vcc, s2, v3
	v_lshl_add_u32 v4, v4, 3, 0
	ds_write_b64 v19, v[6:7]
	s_and_saveexec_b64 s[2:3], vcc
	s_cbranch_execz .LBB0_15
; %bb.14:
	ds_write_b64 v4, v[8:9]
.LBB0_15:
	s_or_b64 exec, exec, s[2:3]
	v_lshlrev_b32_e32 v11, 2, v3
	v_sub_u32_e32 v12, v17, v11
	s_waitcnt lgkmcnt(0)
	s_barrier
	ds_read2_b32 v[6:7], v12 offset1:210
	v_add_u32_e32 v13, 0x700, v12
	v_add_u32_e32 v12, 0xf00, v12
	ds_read2_b32 v[14:15], v13 offset0:42 offset1:252
	ds_read2_b32 v[12:13], v12 offset0:20 offset1:230
	v_sub_u32_e32 v11, 0, v11
	s_movk_i32 s2, 0x46
	v_cmp_gt_u32_e64 s[2:3], s2, v3
	v_add_u32_e32 v21, v17, v11
                                        ; implicit-def: $vgpr25
	s_and_saveexec_b64 s[4:5], s[2:3]
	s_cbranch_execz .LBB0_17
; %bb.16:
	ds_read_b32 v8, v21 offset:1680
	ds_read_b32 v9, v21 offset:3640
	;; [unrolled: 1-line block ×3, first 2 shown]
.LBB0_17:
	s_or_b64 exec, exec, s[4:5]
	v_sub_f32_e32 v30, v10, v18
	v_sub_f32_e32 v11, v5, v26
	v_fma_f32 v29, v10, 2.0, -v30
	v_sub_f32_e32 v32, v16, v24
	v_sub_f32_e32 v34, v20, v22
	v_fma_f32 v10, v5, 2.0, -v11
	v_fma_f32 v31, v16, 2.0, -v32
	;; [unrolled: 1-line block ×3, first 2 shown]
	s_waitcnt lgkmcnt(0)
	s_barrier
	ds_write_b64 v17, v[29:30]
	ds_write_b64 v28, v[31:32]
	;; [unrolled: 1-line block ×3, first 2 shown]
	s_and_saveexec_b64 s[4:5], vcc
	s_cbranch_execz .LBB0_19
; %bb.18:
	ds_write_b64 v4, v[10:11]
.LBB0_19:
	s_or_b64 exec, exec, s[4:5]
	v_add_u32_e32 v16, 0x700, v21
	s_waitcnt lgkmcnt(0)
	s_barrier
	ds_read2_b32 v[18:19], v16 offset0:42 offset1:252
	v_add_u32_e32 v16, 0xf00, v21
	ds_read2_b32 v[4:5], v21 offset1:210
	ds_read2_b32 v[16:17], v16 offset0:20 offset1:230
                                        ; implicit-def: $vgpr26
	s_and_saveexec_b64 s[4:5], s[2:3]
	s_cbranch_execz .LBB0_21
; %bb.20:
	ds_read_b32 v10, v21 offset:1680
	ds_read_b32 v11, v21 offset:3640
	;; [unrolled: 1-line block ×3, first 2 shown]
.LBB0_21:
	s_or_b64 exec, exec, s[4:5]
	v_and_b32_e32 v20, 1, v3
	v_lshlrev_b32_e32 v22, 4, v20
	global_load_dwordx4 v[37:40], v22, s[8:9]
	v_lshrrev_b32_e32 v22, 1, v3
	v_lshrrev_b32_e32 v24, 1, v23
	v_mul_u32_u24_e32 v22, 6, v22
	v_mul_u32_u24_e32 v24, 6, v24
	v_or_b32_e32 v22, v22, v20
	v_or_b32_e32 v28, v24, v20
	v_lshl_add_u32 v24, v22, 2, 0
	v_lshl_add_u32 v22, v28, 2, 0
	s_waitcnt vmcnt(0) lgkmcnt(0)
	s_barrier
	v_mul_f32_e32 v32, v18, v38
	v_mul_f32_e32 v30, v19, v38
	;; [unrolled: 1-line block ×8, first 2 shown]
	v_fmac_f32_e32 v32, v14, v37
	v_fmac_f32_e32 v30, v15, v37
	v_mul_f32_e32 v15, v9, v38
	v_fmac_f32_e32 v33, v12, v39
	v_fmac_f32_e32 v29, v25, v39
	;; [unrolled: 1-line block ×3, first 2 shown]
	v_mul_f32_e32 v41, v12, v40
	v_mul_f32_e32 v42, v13, v40
	;; [unrolled: 1-line block ×3, first 2 shown]
	v_fma_f32 v35, v18, v37, -v34
	v_fma_f32 v18, v19, v37, -v36
	v_fmac_f32_e32 v31, v13, v39
	v_fma_f32 v19, v11, v37, -v15
	v_add_f32_e32 v11, v32, v33
	v_add_f32_e32 v25, v28, v29
	v_fma_f32 v36, v16, v39, -v41
	v_fma_f32 v34, v17, v39, -v42
	;; [unrolled: 1-line block ×3, first 2 shown]
	v_add_f32_e32 v9, v6, v32
	v_add_f32_e32 v14, v30, v31
	;; [unrolled: 1-line block ×3, first 2 shown]
	v_fma_f32 v6, -0.5, v11, v6
	v_fmac_f32_e32 v8, -0.5, v25
	v_sub_f32_e32 v12, v35, v36
	v_add_f32_e32 v13, v7, v30
	v_sub_f32_e32 v15, v18, v34
	v_sub_f32_e32 v26, v19, v17
	v_fmac_f32_e32 v7, -0.5, v14
	v_mov_b32_e32 v14, v6
	v_mov_b32_e32 v11, v8
	v_add_f32_e32 v37, v9, v33
	v_add_f32_e32 v9, v16, v29
	v_fmac_f32_e32 v6, 0x3f5db3d7, v12
	v_mov_b32_e32 v16, v7
	v_fmac_f32_e32 v7, 0x3f5db3d7, v15
	v_fmac_f32_e32 v8, 0x3f5db3d7, v26
	;; [unrolled: 1-line block ×4, first 2 shown]
	v_lshrrev_b32_e32 v25, 1, v27
	v_add_f32_e32 v13, v13, v31
	ds_write_b32 v24, v6 offset:16
	v_fmac_f32_e32 v16, 0xbf5db3d7, v15
	ds_write2_b32 v24, v37, v14 offset1:2
	ds_write2_b32 v22, v13, v16 offset1:2
	ds_write_b32 v22, v7 offset:16
	s_and_saveexec_b64 s[4:5], s[2:3]
	s_cbranch_execz .LBB0_23
; %bb.22:
	v_mul_u32_u24_e32 v6, 6, v25
	v_or_b32_e32 v6, v6, v20
	v_lshl_add_u32 v6, v6, 2, 0
	ds_write2_b32 v6, v9, v11 offset1:2
	ds_write_b32 v6, v8 offset:16
.LBB0_23:
	s_or_b64 exec, exec, s[4:5]
	s_waitcnt lgkmcnt(0)
	s_barrier
	ds_read_b32 v6, v21
	ds_read_b32 v16, v21 offset:1176
	ds_read_b32 v15, v21 offset:2352
	ds_read_b32 v14, v21 offset:3528
	ds_read_b32 v13, v21 offset:4704
	s_movk_i32 s4, 0x54
	v_cmp_gt_u32_e32 vcc, s4, v3
                                        ; implicit-def: $vgpr12
	s_and_saveexec_b64 s[4:5], vcc
	s_cbranch_execz .LBB0_25
; %bb.24:
	ds_read_b32 v7, v21 offset:840
	ds_read_b32 v9, v21 offset:2016
	;; [unrolled: 1-line block ×5, first 2 shown]
.LBB0_25:
	s_or_b64 exec, exec, s[4:5]
	v_add_f32_e32 v27, v35, v36
	v_add_f32_e32 v26, v4, v35
	v_fma_f32 v4, -0.5, v27, v4
	v_sub_f32_e32 v27, v32, v33
	v_mov_b32_e32 v32, v4
	v_fmac_f32_e32 v32, 0x3f5db3d7, v27
	v_fmac_f32_e32 v4, 0xbf5db3d7, v27
	v_add_f32_e32 v27, v5, v18
	v_add_f32_e32 v18, v18, v34
	v_fmac_f32_e32 v5, -0.5, v18
	v_sub_f32_e32 v18, v30, v31
	v_mov_b32_e32 v30, v5
	v_fmac_f32_e32 v30, 0x3f5db3d7, v18
	v_fmac_f32_e32 v5, 0xbf5db3d7, v18
	v_add_f32_e32 v18, v10, v19
	v_add_f32_e32 v18, v18, v17
	;; [unrolled: 1-line block ×3, first 2 shown]
	v_fmac_f32_e32 v10, -0.5, v17
	v_sub_f32_e32 v17, v28, v29
	v_mov_b32_e32 v19, v10
	v_add_f32_e32 v26, v26, v36
	v_fmac_f32_e32 v19, 0x3f5db3d7, v17
	v_fmac_f32_e32 v10, 0xbf5db3d7, v17
	v_add_f32_e32 v27, v27, v34
	s_waitcnt lgkmcnt(0)
	s_barrier
	ds_write2_b32 v24, v26, v32 offset1:2
	ds_write_b32 v24, v4 offset:16
	ds_write2_b32 v22, v27, v30 offset1:2
	ds_write_b32 v22, v5 offset:16
	s_and_saveexec_b64 s[4:5], s[2:3]
	s_cbranch_execz .LBB0_27
; %bb.26:
	v_mul_u32_u24_e32 v4, 6, v25
	v_or_b32_e32 v4, v4, v20
	v_lshl_add_u32 v4, v4, 2, 0
	ds_write2_b32 v4, v18, v19 offset1:2
	ds_write_b32 v4, v10 offset:16
.LBB0_27:
	s_or_b64 exec, exec, s[4:5]
	s_waitcnt lgkmcnt(0)
	s_barrier
	ds_read_b32 v4, v21
	ds_read_b32 v27, v21 offset:1176
	ds_read_b32 v25, v21 offset:2352
	;; [unrolled: 1-line block ×4, first 2 shown]
                                        ; implicit-def: $vgpr20
	s_and_saveexec_b64 s[2:3], vcc
	s_cbranch_execz .LBB0_29
; %bb.28:
	ds_read_b32 v5, v21 offset:840
	ds_read_b32 v18, v21 offset:2016
	;; [unrolled: 1-line block ×5, first 2 shown]
.LBB0_29:
	s_or_b64 exec, exec, s[2:3]
	s_movk_i32 s2, 0xab
	v_mul_lo_u16_sdwa v17, v3, s2 dst_sel:DWORD dst_unused:UNUSED_PAD src0_sel:BYTE_0 src1_sel:DWORD
	v_lshrrev_b16_e32 v17, 10, v17
	v_mul_lo_u16_e32 v26, 6, v17
	v_sub_u16_e32 v26, v3, v26
	v_mov_b32_e32 v28, 5
	v_lshlrev_b32_sdwa v28, v28, v26 dst_sel:DWORD dst_unused:UNUSED_PAD src0_sel:DWORD src1_sel:BYTE_0
	s_mov_b32 s2, 0xaaab
	global_load_dwordx4 v[32:35], v28, s[8:9] offset:32
	global_load_dwordx4 v[36:39], v28, s[8:9] offset:48
	v_mul_u32_u24_sdwa v28, v23, s2 dst_sel:DWORD dst_unused:UNUSED_PAD src0_sel:WORD_0 src1_sel:DWORD
	v_lshrrev_b32_e32 v28, 18, v28
	v_mul_lo_u16_e32 v29, 6, v28
	v_sub_u16_e32 v48, v23, v29
	v_lshlrev_b32_e32 v23, 5, v48
	global_load_dwordx4 v[40:43], v23, s[8:9] offset:32
	global_load_dwordx4 v[44:47], v23, s[8:9] offset:48
	v_mov_b32_e32 v23, 2
	v_mul_u32_u24_e32 v29, 0x78, v17
	v_lshlrev_b32_sdwa v23, v23, v26 dst_sel:DWORD dst_unused:UNUSED_PAD src0_sel:DWORD src1_sel:BYTE_0
	v_add3_u32 v26, 0, v29, v23
	v_mul_lo_u16_e32 v17, 30, v28
	s_waitcnt vmcnt(0) lgkmcnt(0)
	s_barrier
	v_mul_f32_e32 v30, v27, v33
	v_mul_f32_e32 v23, v16, v33
	;; [unrolled: 1-line block ×4, first 2 shown]
	v_fmac_f32_e32 v30, v16, v32
	v_mul_f32_e32 v31, v24, v37
	v_fma_f32 v28, v27, v32, -v23
	v_mul_f32_e32 v32, v22, v39
	v_mul_f32_e32 v16, v14, v37
	v_fmac_f32_e32 v29, v15, v34
	v_fma_f32 v15, v25, v34, -v33
	v_mul_f32_e32 v33, v13, v39
	v_mul_f32_e32 v25, v18, v41
	v_fmac_f32_e32 v31, v14, v36
	v_fmac_f32_e32 v32, v13, v38
	v_mul_f32_e32 v34, v9, v41
	v_mul_f32_e32 v35, v11, v43
	;; [unrolled: 1-line block ×3, first 2 shown]
	v_fma_f32 v14, v24, v36, -v16
	v_mul_f32_e32 v24, v20, v47
	v_fma_f32 v13, v22, v38, -v33
	v_mul_f32_e32 v22, v12, v47
	v_fmac_f32_e32 v25, v9, v40
	v_add_f32_e32 v9, v29, v31
	v_add_f32_e32 v33, v30, v32
	v_mul_f32_e32 v23, v19, v43
	v_mul_f32_e32 v36, v8, v45
	v_fma_f32 v16, v18, v40, -v34
	v_fma_f32 v18, v19, v42, -v35
	v_fmac_f32_e32 v27, v8, v44
	v_fmac_f32_e32 v24, v12, v46
	v_fma_f32 v20, v20, v46, -v22
	v_add_f32_e32 v8, v6, v30
	v_sub_f32_e32 v12, v30, v29
	v_sub_f32_e32 v22, v32, v31
	;; [unrolled: 1-line block ×4, first 2 shown]
	v_fma_f32 v9, -0.5, v9, v6
	v_fmac_f32_e32 v6, -0.5, v33
	v_fmac_f32_e32 v23, v11, v42
	v_fma_f32 v19, v10, v44, -v36
	v_sub_f32_e32 v10, v28, v13
	v_sub_f32_e32 v11, v15, v14
	v_add_f32_e32 v12, v12, v22
	v_add_f32_e32 v22, v34, v35
	v_mov_b32_e32 v34, v6
	v_mov_b32_e32 v33, v9
	v_fmac_f32_e32 v9, 0x3f737871, v10
	v_fmac_f32_e32 v6, 0xbf737871, v11
	;; [unrolled: 1-line block ×3, first 2 shown]
	v_add_f32_e32 v8, v8, v29
	v_fmac_f32_e32 v33, 0xbf737871, v10
	v_fmac_f32_e32 v9, 0x3f167918, v11
	;; [unrolled: 1-line block ×4, first 2 shown]
	v_add_f32_e32 v8, v8, v31
	v_fmac_f32_e32 v33, 0xbf167918, v11
	v_fmac_f32_e32 v9, 0x3e9e377a, v12
	;; [unrolled: 1-line block ×4, first 2 shown]
	v_lshlrev_b32_e32 v22, 2, v48
	v_add_f32_e32 v8, v8, v32
	v_fmac_f32_e32 v33, 0x3e9e377a, v12
	ds_write_b32 v26, v9 offset:96
	ds_write2_b32 v26, v8, v33 offset1:6
	ds_write2_b32 v26, v34, v6 offset0:12 offset1:18
	s_and_saveexec_b64 s[2:3], vcc
	s_cbranch_execz .LBB0_31
; %bb.30:
	v_add_f32_e32 v9, v25, v24
	v_fma_f32 v9, -0.5, v9, v7
	v_sub_f32_e32 v6, v23, v25
	v_sub_f32_e32 v8, v27, v24
	;; [unrolled: 1-line block ×3, first 2 shown]
	v_mov_b32_e32 v11, v9
	v_add_f32_e32 v6, v6, v8
	v_sub_f32_e32 v8, v16, v20
	v_fmac_f32_e32 v11, 0xbf737871, v10
	v_fmac_f32_e32 v9, 0x3f737871, v10
	;; [unrolled: 1-line block ×6, first 2 shown]
	v_sub_f32_e32 v6, v25, v23
	v_sub_f32_e32 v12, v24, v27
	v_add_f32_e32 v6, v6, v12
	v_add_f32_e32 v12, v23, v27
	v_fma_f32 v12, -0.5, v12, v7
	v_mov_b32_e32 v33, v12
	v_fmac_f32_e32 v33, 0x3f737871, v8
	v_fmac_f32_e32 v12, 0xbf737871, v8
	v_fmac_f32_e32 v33, 0x3f167918, v10
	v_fmac_f32_e32 v12, 0xbf167918, v10
	v_fmac_f32_e32 v33, 0x3e9e377a, v6
	v_fmac_f32_e32 v12, 0x3e9e377a, v6
	v_add_f32_e32 v6, v7, v25
	v_add_f32_e32 v6, v6, v23
	;; [unrolled: 1-line block ×3, first 2 shown]
	v_lshlrev_b32_e32 v7, 2, v17
	v_add_f32_e32 v6, v6, v24
	v_add3_u32 v7, 0, v22, v7
	ds_write2_b32 v7, v6, v12 offset1:6
	ds_write2_b32 v7, v9, v11 offset0:12 offset1:18
	ds_write_b32 v7, v33 offset:96
.LBB0_31:
	s_or_b64 exec, exec, s[2:3]
	v_add_f32_e32 v6, v4, v28
	v_add_f32_e32 v6, v6, v15
	;; [unrolled: 1-line block ×5, first 2 shown]
	v_fma_f32 v34, -0.5, v6, v4
	v_sub_f32_e32 v6, v30, v32
	v_mov_b32_e32 v30, v34
	v_fmac_f32_e32 v30, 0x3f737871, v6
	v_sub_f32_e32 v7, v29, v31
	v_sub_f32_e32 v8, v28, v15
	;; [unrolled: 1-line block ×3, first 2 shown]
	v_fmac_f32_e32 v34, 0xbf737871, v6
	v_fmac_f32_e32 v30, 0x3f167918, v7
	v_add_f32_e32 v8, v8, v9
	v_fmac_f32_e32 v34, 0xbf167918, v7
	v_fmac_f32_e32 v30, 0x3e9e377a, v8
	;; [unrolled: 1-line block ×3, first 2 shown]
	v_add_f32_e32 v8, v28, v13
	v_fmac_f32_e32 v4, -0.5, v8
	v_mov_b32_e32 v29, v4
	v_fmac_f32_e32 v29, 0xbf737871, v7
	v_sub_f32_e32 v8, v15, v28
	v_sub_f32_e32 v9, v14, v13
	v_fmac_f32_e32 v4, 0x3f737871, v7
	v_lshl_add_u32 v12, v3, 2, 0
	v_fmac_f32_e32 v29, 0x3f167918, v6
	v_add_f32_e32 v8, v8, v9
	v_fmac_f32_e32 v4, 0xbf167918, v6
	v_add_u32_e32 v13, 0x600, v12
	v_add_u32_e32 v14, 0xd00, v21
	v_fmac_f32_e32 v29, 0x3e9e377a, v8
	v_fmac_f32_e32 v4, 0x3e9e377a, v8
	s_waitcnt lgkmcnt(0)
	s_barrier
	ds_read2_b32 v[6:7], v21 offset1:210
	ds_read2_b32 v[10:11], v13 offset0:36 offset1:246
	ds_read2_b32 v[8:9], v14 offset0:8 offset1:218
	ds_read_b32 v15, v21 offset:5040
	s_waitcnt lgkmcnt(0)
	s_barrier
	ds_write2_b32 v26, v33, v30 offset1:6
	ds_write2_b32 v26, v29, v4 offset0:12 offset1:18
	ds_write_b32 v26, v34 offset:96
	s_and_saveexec_b64 s[2:3], vcc
	s_cbranch_execz .LBB0_33
; %bb.32:
	v_add_f32_e32 v26, v18, v19
	v_fma_f32 v26, -0.5, v26, v5
	v_sub_f32_e32 v24, v25, v24
	v_mov_b32_e32 v25, v26
	v_fmac_f32_e32 v25, 0x3f737871, v24
	v_sub_f32_e32 v23, v23, v27
	v_sub_f32_e32 v27, v16, v18
	;; [unrolled: 1-line block ×3, first 2 shown]
	v_fmac_f32_e32 v26, 0xbf737871, v24
	v_fmac_f32_e32 v25, 0x3f167918, v23
	v_add_f32_e32 v27, v27, v28
	v_fmac_f32_e32 v26, 0xbf167918, v23
	v_fmac_f32_e32 v25, 0x3e9e377a, v27
	;; [unrolled: 1-line block ×3, first 2 shown]
	v_add_f32_e32 v27, v16, v20
	v_add_f32_e32 v4, v5, v16
	v_fmac_f32_e32 v5, -0.5, v27
	v_mov_b32_e32 v27, v5
	v_add_f32_e32 v4, v4, v18
	v_fmac_f32_e32 v27, 0xbf737871, v23
	v_sub_f32_e32 v16, v18, v16
	v_sub_f32_e32 v18, v19, v20
	v_fmac_f32_e32 v5, 0x3f737871, v23
	v_fmac_f32_e32 v27, 0x3f167918, v24
	v_add_f32_e32 v16, v16, v18
	v_fmac_f32_e32 v5, 0xbf167918, v24
	v_add_f32_e32 v4, v4, v19
	v_fmac_f32_e32 v27, 0x3e9e377a, v16
	v_fmac_f32_e32 v5, 0x3e9e377a, v16
	v_lshlrev_b32_e32 v16, 2, v17
	v_add_f32_e32 v4, v4, v20
	v_add3_u32 v16, 0, v22, v16
	ds_write2_b32 v16, v4, v25 offset1:6
	ds_write2_b32 v16, v27, v5 offset0:12 offset1:18
	ds_write_b32 v16, v26 offset:96
.LBB0_33:
	s_or_b64 exec, exec, s[2:3]
	s_movk_i32 s2, 0x89
	v_mul_lo_u16_sdwa v4, v3, s2 dst_sel:DWORD dst_unused:UNUSED_PAD src0_sel:BYTE_0 src1_sel:DWORD
	v_lshrrev_b16_e32 v20, 12, v4
	v_mul_lo_u16_e32 v4, 30, v20
	v_sub_u16_e32 v34, v3, v4
	v_mov_b32_e32 v4, 6
	v_mul_u32_u24_sdwa v4, v34, v4 dst_sel:DWORD dst_unused:UNUSED_PAD src0_sel:BYTE_0 src1_sel:DWORD
	v_lshlrev_b32_e32 v4, 3, v4
	s_waitcnt lgkmcnt(0)
	s_barrier
	global_load_dwordx4 v[16:19], v4, s[8:9] offset:224
	global_load_dwordx4 v[22:25], v4, s[8:9] offset:240
	;; [unrolled: 1-line block ×3, first 2 shown]
	ds_read2_b32 v[4:5], v21 offset1:210
	ds_read2_b32 v[30:31], v13 offset0:36 offset1:246
	ds_read2_b32 v[32:33], v14 offset0:8 offset1:218
	ds_read_b32 v35, v21 offset:5040
	s_mov_b32 s3, 0x3f3bfb3b
	s_mov_b32 s4, 0xbf3bfb3b
	;; [unrolled: 1-line block ×4, first 2 shown]
	s_waitcnt vmcnt(0) lgkmcnt(0)
	s_barrier
	v_mul_f32_e32 v37, v30, v19
	v_mul_f32_e32 v36, v5, v17
	;; [unrolled: 1-line block ×6, first 2 shown]
	v_fmac_f32_e32 v37, v10, v18
	v_mul_f32_e32 v10, v15, v29
	v_mul_f32_e32 v38, v31, v23
	;; [unrolled: 1-line block ×6, first 2 shown]
	v_fmac_f32_e32 v36, v7, v16
	v_fma_f32 v5, v5, v16, -v17
	v_fmac_f32_e32 v40, v9, v26
	v_fmac_f32_e32 v41, v15, v28
	v_fma_f32 v10, v35, v28, -v10
	v_fma_f32 v7, v30, v18, -v19
	v_fmac_f32_e32 v38, v11, v22
	v_fma_f32 v11, v31, v22, -v23
	v_fmac_f32_e32 v39, v8, v24
	v_fma_f32 v8, v32, v24, -v25
	v_fma_f32 v9, v33, v26, -v27
	v_add_f32_e32 v15, v36, v41
	v_add_f32_e32 v16, v5, v10
	v_sub_f32_e32 v5, v5, v10
	v_add_f32_e32 v10, v37, v40
	v_add_f32_e32 v18, v7, v9
	v_sub_f32_e32 v7, v7, v9
	;; [unrolled: 3-line block ×4, first 2 shown]
	v_sub_f32_e32 v26, v18, v16
	v_sub_f32_e32 v15, v15, v9
	v_sub_f32_e32 v10, v9, v10
	v_sub_f32_e32 v18, v22, v18
	v_add_f32_e32 v9, v9, v11
	v_sub_f32_e32 v17, v36, v41
	v_sub_f32_e32 v19, v37, v40
	;; [unrolled: 1-line block ×4, first 2 shown]
	v_add_f32_e32 v28, v8, v7
	v_sub_f32_e32 v30, v8, v7
	v_sub_f32_e32 v7, v7, v5
	v_add_f32_e32 v11, v22, v24
	v_mul_f32_e32 v15, 0x3f4a47b2, v15
	v_mul_f32_e32 v22, 0x3d64c772, v10
	v_mul_f32_e32 v24, 0x3d64c772, v18
	v_add_f32_e32 v6, v6, v9
	v_add_f32_e32 v27, v23, v19
	v_sub_f32_e32 v29, v23, v19
	v_sub_f32_e32 v8, v5, v8
	;; [unrolled: 1-line block ×3, first 2 shown]
	v_add_f32_e32 v5, v28, v5
	v_mul_f32_e32 v28, 0x3f08b237, v30
	v_mul_f32_e32 v30, 0xbf5ff5aa, v7
	v_add_f32_e32 v31, v4, v11
	v_fma_f32 v4, v25, s3, -v22
	v_fma_f32 v22, v26, s3, -v24
	;; [unrolled: 1-line block ×3, first 2 shown]
	v_fmac_f32_e32 v15, 0x3d64c772, v10
	v_mov_b32_e32 v10, v6
	v_sub_f32_e32 v23, v17, v23
	v_add_f32_e32 v17, v27, v17
	v_mul_f32_e32 v16, 0x3f4a47b2, v16
	v_mul_f32_e32 v27, 0x3f08b237, v29
	;; [unrolled: 1-line block ×3, first 2 shown]
	v_mov_b32_e32 v25, v31
	v_fmac_f32_e32 v10, 0xbf955555, v9
	v_fma_f32 v7, v7, s2, -v28
	v_fmac_f32_e32 v28, 0xbeae86e6, v8
	v_fma_f32 v8, v8, s5, -v30
	;; [unrolled: 2-line block ×4, first 2 shown]
	v_add_f32_e32 v15, v15, v10
	v_add_f32_e32 v4, v4, v10
	;; [unrolled: 1-line block ×3, first 2 shown]
	v_fmac_f32_e32 v7, 0xbee1c552, v5
	v_fmac_f32_e32 v8, 0xbee1c552, v5
	v_fma_f32 v11, v19, s2, -v27
	v_fmac_f32_e32 v27, 0xbeae86e6, v23
	v_add_f32_e32 v19, v22, v25
	v_add_f32_e32 v9, v9, v25
	v_fmac_f32_e32 v18, 0xbee1c552, v17
	v_add_f32_e32 v22, v8, v10
	v_sub_f32_e32 v24, v4, v7
	v_add_f32_e32 v4, v7, v4
	v_sub_f32_e32 v7, v10, v8
	v_mov_b32_e32 v10, 2
	v_add_f32_e32 v16, v16, v25
	v_fmac_f32_e32 v27, 0xbee1c552, v17
	v_fmac_f32_e32 v28, 0xbee1c552, v5
	v_sub_f32_e32 v23, v9, v18
	v_add_f32_e32 v18, v18, v9
	v_mul_u32_u24_e32 v9, 0x348, v20
	v_lshlrev_b32_sdwa v10, v10, v34 dst_sel:DWORD dst_unused:UNUSED_PAD src0_sel:DWORD src1_sel:BYTE_0
	v_fmac_f32_e32 v11, 0xbee1c552, v17
	v_add_f32_e32 v5, v28, v15
	v_sub_f32_e32 v17, v16, v27
	v_sub_f32_e32 v8, v15, v28
	v_add_f32_e32 v15, v27, v16
	v_add3_u32 v16, 0, v9, v10
	ds_write2_b32 v16, v6, v5 offset1:30
	ds_write2_b32 v16, v22, v24 offset0:60 offset1:90
	ds_write2_b32 v16, v4, v7 offset0:120 offset1:150
	ds_write_b32 v16, v8 offset:720
	s_waitcnt lgkmcnt(0)
	s_barrier
	ds_read2_b32 v[4:5], v21 offset1:210
	ds_read2_b32 v[6:7], v13 offset0:36 offset1:246
	ds_read2_b32 v[8:9], v14 offset0:8 offset1:218
	ds_read_b32 v10, v21 offset:5040
	v_add_f32_e32 v25, v11, v19
	v_sub_f32_e32 v11, v19, v11
	s_waitcnt lgkmcnt(0)
	s_barrier
	ds_write2_b32 v16, v31, v17 offset1:30
	ds_write2_b32 v16, v23, v25 offset0:60 offset1:90
	ds_write2_b32 v16, v11, v18 offset0:120 offset1:150
	ds_write_b32 v16, v15 offset:720
	s_waitcnt lgkmcnt(0)
	s_barrier
	s_and_saveexec_b64 s[6:7], s[0:1]
	s_cbranch_execz .LBB0_35
; %bb.34:
	v_mul_u32_u24_e32 v3, 6, v3
	v_lshlrev_b32_e32 v3, 3, v3
	global_load_dwordx4 v[13:16], v3, s[8:9] offset:1664
	global_load_dwordx4 v[17:20], v3, s[8:9] offset:1680
	;; [unrolled: 1-line block ×3, first 2 shown]
	v_add_u32_e32 v11, 0xd00, v21
	ds_read2_b32 v[26:27], v21 offset1:210
	ds_read_b32 v3, v21 offset:5040
	v_add_u32_e32 v21, 0x600, v12
	ds_read2_b32 v[11:12], v11 offset0:8 offset1:218
	ds_read2_b32 v[28:29], v21 offset0:36 offset1:246
	s_movk_i32 s0, 0x1000
	s_waitcnt vmcnt(2)
	v_mul_f32_e32 v21, v5, v13
	s_waitcnt vmcnt(1)
	v_mul_f32_e32 v30, v8, v19
	v_mul_f32_e32 v31, v7, v17
	v_mul_f32_e32 v32, v6, v15
	s_waitcnt vmcnt(0)
	v_mul_f32_e32 v33, v9, v22
	v_mul_f32_e32 v8, v8, v20
	;; [unrolled: 1-line block ×8, first 2 shown]
	s_waitcnt lgkmcnt(2)
	v_fmac_f32_e32 v34, v3, v25
	v_fma_f32 v3, v3, v24, -v10
	v_fmac_f32_e32 v21, v27, v14
	s_waitcnt lgkmcnt(1)
	v_fmac_f32_e32 v30, v11, v20
	s_waitcnt lgkmcnt(0)
	v_fmac_f32_e32 v31, v29, v18
	v_fmac_f32_e32 v32, v28, v16
	;; [unrolled: 1-line block ×3, first 2 shown]
	v_fma_f32 v5, v27, v13, -v5
	v_fma_f32 v7, v29, v17, -v7
	;; [unrolled: 1-line block ×5, first 2 shown]
	v_sub_f32_e32 v11, v30, v31
	v_sub_f32_e32 v12, v32, v33
	v_add_f32_e32 v13, v5, v3
	v_add_f32_e32 v14, v8, v7
	;; [unrolled: 1-line block ×6, first 2 shown]
	v_sub_f32_e32 v10, v21, v34
	v_sub_f32_e32 v3, v5, v3
	;; [unrolled: 1-line block ×6, first 2 shown]
	v_add_f32_e32 v20, v13, v15
	v_sub_f32_e32 v22, v17, v18
	v_add_f32_e32 v23, v16, v18
	v_add_f32_e32 v9, v11, v12
	v_sub_f32_e32 v21, v16, v17
	v_sub_f32_e32 v24, v3, v5
	;; [unrolled: 1-line block ×3, first 2 shown]
	v_add_f32_e32 v5, v5, v8
	v_sub_f32_e32 v12, v12, v10
	v_mul_f32_e32 v27, 0x3f08b237, v7
	v_mul_f32_e32 v19, 0x3d64c772, v19
	v_add_f32_e32 v7, v14, v20
	v_mul_f32_e32 v20, 0x3d64c772, v22
	v_add_f32_e32 v17, v17, v23
	v_sub_f32_e32 v6, v10, v11
	v_sub_f32_e32 v11, v13, v14
	v_mul_f32_e32 v22, 0x3f08b237, v25
	v_add_f32_e32 v23, v3, v5
	v_mul_f32_e32 v25, 0xbf5ff5aa, v12
	v_mov_b32_e32 v28, v27
	v_mov_b32_e32 v29, v19
	v_add_f32_e32 v5, v26, v7
	v_mov_b32_e32 v26, v20
	v_add_f32_e32 v4, v4, v17
	v_sub_f32_e32 v3, v8, v3
	v_add_f32_e32 v10, v10, v9
	v_mul_f32_e32 v9, 0x3f4a47b2, v11
	v_mul_f32_e32 v14, 0x3f4a47b2, v21
	v_fma_f32 v25, v6, s5, -v25
	v_fmac_f32_e32 v28, 0xbeae86e6, v6
	v_fmac_f32_e32 v29, 0x3f4a47b2, v11
	v_mov_b32_e32 v11, v5
	v_fmac_f32_e32 v26, 0x3f4a47b2, v21
	v_mov_b32_e32 v21, v4
	v_sub_f32_e32 v13, v15, v13
	v_sub_f32_e32 v16, v18, v16
	v_mul_f32_e32 v8, 0xbf5ff5aa, v3
	v_fma_f32 v12, v12, s2, -v27
	v_fmac_f32_e32 v28, 0xbee1c552, v10
	v_fmac_f32_e32 v11, 0xbf955555, v7
	;; [unrolled: 1-line block ×4, first 2 shown]
	v_fma_f32 v9, v13, s4, -v9
	v_fma_f32 v14, v16, s4, -v14
	;; [unrolled: 1-line block ×4, first 2 shown]
	v_fmac_f32_e32 v12, 0xbee1c552, v10
	v_fma_f32 v3, v3, s2, -v22
	v_fma_f32 v10, v16, s3, -v20
	v_add_f32_e32 v14, v14, v21
	v_fmac_f32_e32 v18, 0xbee1c552, v23
	v_add_f32_e32 v13, v13, v11
	v_fmac_f32_e32 v3, 0xbee1c552, v23
	v_add_f32_e32 v16, v10, v21
	v_add_f32_e32 v17, v29, v11
	;; [unrolled: 1-line block ×3, first 2 shown]
	v_sub_f32_e32 v8, v14, v18
	v_sub_f32_e32 v11, v13, v12
	v_add_f32_e32 v10, v3, v16
	v_add_f32_e32 v13, v12, v13
	v_sub_f32_e32 v12, v16, v3
	v_add_f32_e32 v14, v18, v14
	v_mov_b32_e32 v3, 0
	v_mov_b32_e32 v18, s13
	v_add_co_u32_e32 v19, vcc, s12, v0
	v_addc_co_u32_e32 v18, vcc, v18, v1, vcc
	v_lshlrev_b64 v[0:1], 3, v[2:3]
	v_mov_b32_e32 v30, v22
	v_add_co_u32_e32 v0, vcc, v19, v0
	v_addc_co_u32_e32 v1, vcc, v18, v1, vcc
	v_fmac_f32_e32 v30, 0xbeae86e6, v24
	v_add_co_u32_e32 v2, vcc, s0, v0
	v_fmac_f32_e32 v30, 0xbee1c552, v23
	v_add_f32_e32 v26, v26, v21
	v_addc_co_u32_e32 v3, vcc, 0, v1, vcc
	v_add_f32_e32 v7, v28, v17
	v_add_f32_e32 v9, v25, v15
	v_sub_f32_e32 v15, v15, v25
	v_sub_f32_e32 v17, v17, v28
	v_add_f32_e32 v16, v30, v26
	global_store_dwordx2 v[0:1], v[4:5], off
	global_store_dwordx2 v[0:1], v[16:17], off offset:1680
	global_store_dwordx2 v[0:1], v[14:15], off offset:3360
	v_add_co_u32_e32 v0, vcc, 0x2000, v0
	v_addc_co_u32_e32 v1, vcc, 0, v1, vcc
	v_sub_f32_e32 v6, v26, v30
	global_store_dwordx2 v[2:3], v[12:13], off offset:944
	global_store_dwordx2 v[2:3], v[10:11], off offset:2624
	;; [unrolled: 1-line block ×4, first 2 shown]
.LBB0_35:
	s_endpgm
	.section	.rodata,"a",@progbits
	.p2align	6, 0x0
	.amdhsa_kernel fft_rtc_back_len1470_factors_2_3_5_7_7_wgs_210_tpt_210_halfLds_sp_ip_CI_unitstride_sbrr_dirReg
		.amdhsa_group_segment_fixed_size 0
		.amdhsa_private_segment_fixed_size 0
		.amdhsa_kernarg_size 88
		.amdhsa_user_sgpr_count 6
		.amdhsa_user_sgpr_private_segment_buffer 1
		.amdhsa_user_sgpr_dispatch_ptr 0
		.amdhsa_user_sgpr_queue_ptr 0
		.amdhsa_user_sgpr_kernarg_segment_ptr 1
		.amdhsa_user_sgpr_dispatch_id 0
		.amdhsa_user_sgpr_flat_scratch_init 0
		.amdhsa_user_sgpr_private_segment_size 0
		.amdhsa_uses_dynamic_stack 0
		.amdhsa_system_sgpr_private_segment_wavefront_offset 0
		.amdhsa_system_sgpr_workgroup_id_x 1
		.amdhsa_system_sgpr_workgroup_id_y 0
		.amdhsa_system_sgpr_workgroup_id_z 0
		.amdhsa_system_sgpr_workgroup_info 0
		.amdhsa_system_vgpr_workitem_id 0
		.amdhsa_next_free_vgpr 49
		.amdhsa_next_free_sgpr 22
		.amdhsa_reserve_vcc 1
		.amdhsa_reserve_flat_scratch 0
		.amdhsa_float_round_mode_32 0
		.amdhsa_float_round_mode_16_64 0
		.amdhsa_float_denorm_mode_32 3
		.amdhsa_float_denorm_mode_16_64 3
		.amdhsa_dx10_clamp 1
		.amdhsa_ieee_mode 1
		.amdhsa_fp16_overflow 0
		.amdhsa_exception_fp_ieee_invalid_op 0
		.amdhsa_exception_fp_denorm_src 0
		.amdhsa_exception_fp_ieee_div_zero 0
		.amdhsa_exception_fp_ieee_overflow 0
		.amdhsa_exception_fp_ieee_underflow 0
		.amdhsa_exception_fp_ieee_inexact 0
		.amdhsa_exception_int_div_zero 0
	.end_amdhsa_kernel
	.text
.Lfunc_end0:
	.size	fft_rtc_back_len1470_factors_2_3_5_7_7_wgs_210_tpt_210_halfLds_sp_ip_CI_unitstride_sbrr_dirReg, .Lfunc_end0-fft_rtc_back_len1470_factors_2_3_5_7_7_wgs_210_tpt_210_halfLds_sp_ip_CI_unitstride_sbrr_dirReg
                                        ; -- End function
	.section	.AMDGPU.csdata,"",@progbits
; Kernel info:
; codeLenInByte = 5452
; NumSgprs: 26
; NumVgprs: 49
; ScratchSize: 0
; MemoryBound: 0
; FloatMode: 240
; IeeeMode: 1
; LDSByteSize: 0 bytes/workgroup (compile time only)
; SGPRBlocks: 3
; VGPRBlocks: 12
; NumSGPRsForWavesPerEU: 26
; NumVGPRsForWavesPerEU: 49
; Occupancy: 4
; WaveLimiterHint : 1
; COMPUTE_PGM_RSRC2:SCRATCH_EN: 0
; COMPUTE_PGM_RSRC2:USER_SGPR: 6
; COMPUTE_PGM_RSRC2:TRAP_HANDLER: 0
; COMPUTE_PGM_RSRC2:TGID_X_EN: 1
; COMPUTE_PGM_RSRC2:TGID_Y_EN: 0
; COMPUTE_PGM_RSRC2:TGID_Z_EN: 0
; COMPUTE_PGM_RSRC2:TIDIG_COMP_CNT: 0
	.type	__hip_cuid_6a65d8bb4162c0db,@object ; @__hip_cuid_6a65d8bb4162c0db
	.section	.bss,"aw",@nobits
	.globl	__hip_cuid_6a65d8bb4162c0db
__hip_cuid_6a65d8bb4162c0db:
	.byte	0                               ; 0x0
	.size	__hip_cuid_6a65d8bb4162c0db, 1

	.ident	"AMD clang version 19.0.0git (https://github.com/RadeonOpenCompute/llvm-project roc-6.4.0 25133 c7fe45cf4b819c5991fe208aaa96edf142730f1d)"
	.section	".note.GNU-stack","",@progbits
	.addrsig
	.addrsig_sym __hip_cuid_6a65d8bb4162c0db
	.amdgpu_metadata
---
amdhsa.kernels:
  - .args:
      - .actual_access:  read_only
        .address_space:  global
        .offset:         0
        .size:           8
        .value_kind:     global_buffer
      - .offset:         8
        .size:           8
        .value_kind:     by_value
      - .actual_access:  read_only
        .address_space:  global
        .offset:         16
        .size:           8
        .value_kind:     global_buffer
      - .actual_access:  read_only
        .address_space:  global
        .offset:         24
        .size:           8
        .value_kind:     global_buffer
      - .offset:         32
        .size:           8
        .value_kind:     by_value
      - .actual_access:  read_only
        .address_space:  global
        .offset:         40
        .size:           8
        .value_kind:     global_buffer
      - .actual_access:  read_only
        .address_space:  global
        .offset:         48
        .size:           8
        .value_kind:     global_buffer
      - .offset:         56
        .size:           4
        .value_kind:     by_value
      - .actual_access:  read_only
        .address_space:  global
        .offset:         64
        .size:           8
        .value_kind:     global_buffer
      - .actual_access:  read_only
        .address_space:  global
        .offset:         72
        .size:           8
        .value_kind:     global_buffer
      - .address_space:  global
        .offset:         80
        .size:           8
        .value_kind:     global_buffer
    .group_segment_fixed_size: 0
    .kernarg_segment_align: 8
    .kernarg_segment_size: 88
    .language:       OpenCL C
    .language_version:
      - 2
      - 0
    .max_flat_workgroup_size: 210
    .name:           fft_rtc_back_len1470_factors_2_3_5_7_7_wgs_210_tpt_210_halfLds_sp_ip_CI_unitstride_sbrr_dirReg
    .private_segment_fixed_size: 0
    .sgpr_count:     26
    .sgpr_spill_count: 0
    .symbol:         fft_rtc_back_len1470_factors_2_3_5_7_7_wgs_210_tpt_210_halfLds_sp_ip_CI_unitstride_sbrr_dirReg.kd
    .uniform_work_group_size: 1
    .uses_dynamic_stack: false
    .vgpr_count:     49
    .vgpr_spill_count: 0
    .wavefront_size: 64
amdhsa.target:   amdgcn-amd-amdhsa--gfx906
amdhsa.version:
  - 1
  - 2
...

	.end_amdgpu_metadata
